;; amdgpu-corpus repo=zjin-lcf/HeCBench kind=compiled arch=gfx906 opt=O3
	.amdgcn_target "amdgcn-amd-amdhsa--gfx906"
	.amdhsa_code_object_version 6
	.text
	.protected	_Z8DCT2D8x8PfPKfj       ; -- Begin function _Z8DCT2D8x8PfPKfj
	.globl	_Z8DCT2D8x8PfPKfj
	.p2align	8
	.type	_Z8DCT2D8x8PfPKfj,@function
_Z8DCT2D8x8PfPKfj:                      ; @_Z8DCT2D8x8PfPKfj
; %bb.0:
	s_load_dword s0, s[4:5], 0x10
	s_lshl_b32 s6, s6, 10
	v_lshlrev_b32_e32 v2, 6, v1
	v_add_u32_e32 v1, s6, v2
	v_or_b32_e32 v1, 63, v1
	s_waitcnt lgkmcnt(0)
	v_cmp_gt_u32_e32 vcc, s0, v1
	s_and_saveexec_b64 s[0:1], vcc
	s_cbranch_execz .LBB0_2
; %bb.1:
	s_load_dwordx4 s[0:3], s[4:5], 0x0
	s_mov_b32 s7, 0
	s_lshl_b64 s[4:5], s[6:7], 2
	v_add_lshl_u32 v1, v2, v0, 2
	v_lshlrev_b32_e32 v0, 5, v0
	s_waitcnt lgkmcnt(0)
	s_add_u32 s2, s2, s4
	s_addc_u32 s3, s3, s5
	global_load_dword v3, v1, s[2:3]
	global_load_dword v4, v1, s[2:3] offset:32
	global_load_dword v5, v1, s[2:3] offset:64
	;; [unrolled: 1-line block ×7, first 2 shown]
	v_lshl_add_u32 v0, v2, 2, v0
	s_mov_b32 s2, 0x3f0a8bd4
	s_add_u32 s0, s0, s4
	s_addc_u32 s1, s1, s5
	s_waitcnt vmcnt(7)
	ds_write_b32 v1, v3
	s_waitcnt vmcnt(6)
	ds_write_b32 v1, v4 offset:32
	s_waitcnt vmcnt(5)
	ds_write_b32 v1, v5 offset:64
	;; [unrolled: 2-line block ×7, first 2 shown]
	ds_read_b128 v[2:5], v0
	ds_read_b128 v[6:9], v0 offset:16
	s_waitcnt lgkmcnt(0)
	v_add_f32_e32 v10, v2, v9
	v_add_f32_e32 v11, v3, v8
	;; [unrolled: 1-line block ×4, first 2 shown]
	v_sub_f32_e32 v3, v8, v3
	v_sub_f32_e32 v2, v2, v9
	;; [unrolled: 1-line block ×4, first 2 shown]
	v_add_f32_e32 v6, v10, v13
	v_sub_f32_e32 v7, v10, v13
	v_add_f32_e32 v8, v11, v12
	v_sub_f32_e32 v9, v11, v12
	v_mul_f32_e32 v10, 0xbf968317, v3
	v_mul_f32_e32 v11, 0x3e8d42af, v3
	;; [unrolled: 1-line block ×4, first 2 shown]
	v_fmac_f32_e32 v10, 0x3fb18a86, v2
	v_fmac_f32_e32 v11, 0x3f968317, v2
	v_add_f32_e32 v3, v8, v6
	v_mul_f32_e32 v14, 0x3fa73d75, v7
	v_sub_f32_e32 v6, v6, v8
	v_mul_f32_e32 v8, 0x3fa73d75, v9
	v_fmac_f32_e32 v12, 0x3f49234e, v2
	v_fmac_f32_e32 v13, 0x3e8d42af, v2
	;; [unrolled: 1-line block ×4, first 2 shown]
	v_mul_f32_e32 v2, 0x3eb504f3, v3
	v_fmac_f32_e32 v14, 0x3f0a8bd4, v9
	v_fma_f32 v3, v7, s2, -v8
	v_fmac_f32_e32 v12, 0x3e8d42af, v4
	v_fmac_f32_e32 v13, 0x3f968317, v4
	;; [unrolled: 1-line block ×4, first 2 shown]
	v_mul_f32_e32 v4, 0x3eb504f3, v14
	v_mul_f32_e32 v8, 0x3eb504f3, v3
	v_fmac_f32_e32 v12, 0xbf968317, v5
	v_fmac_f32_e32 v13, 0x3fb18a86, v5
	v_mul_f32_e32 v3, 0x3eb504f3, v10
	v_mul_f32_e32 v5, 0x3eb504f3, v11
	;; [unrolled: 1-line block ×5, first 2 shown]
	ds_write_b128 v0, v[2:5]
	ds_write_b128 v0, v[6:9] offset:16
	ds_read2_b32 v[2:3], v1 offset0:48 offset1:56
	ds_read2_b32 v[4:5], v1 offset1:8
	ds_read2_b32 v[6:7], v1 offset0:16 offset1:24
	ds_read2_b32 v[8:9], v1 offset0:32 offset1:40
	s_waitcnt lgkmcnt(2)
	v_add_f32_e32 v10, v5, v2
	v_sub_f32_e32 v2, v2, v5
	s_waitcnt lgkmcnt(0)
	v_add_f32_e32 v11, v6, v9
	v_add_f32_e32 v0, v4, v3
	;; [unrolled: 1-line block ×3, first 2 shown]
	v_sub_f32_e32 v3, v4, v3
	v_sub_f32_e32 v4, v6, v9
	;; [unrolled: 1-line block ×3, first 2 shown]
	v_add_f32_e32 v7, v10, v11
	v_sub_f32_e32 v8, v10, v11
	v_mul_f32_e32 v9, 0xbf968317, v2
	v_mul_f32_e32 v10, 0x3e8d42af, v2
	v_fmac_f32_e32 v9, 0x3fb18a86, v3
	v_fmac_f32_e32 v10, 0x3f968317, v3
	v_add_f32_e32 v6, v0, v12
	v_sub_f32_e32 v0, v0, v12
	v_fmac_f32_e32 v9, 0x3f49234e, v4
	v_fmac_f32_e32 v10, 0xbfb18a86, v4
	v_mul_f32_e32 v12, 0x3fa73d75, v0
	v_fmac_f32_e32 v9, 0xbe8d42af, v5
	v_fmac_f32_e32 v10, 0x3f49234e, v5
	v_add_f32_e32 v11, v7, v6
	v_sub_f32_e32 v6, v6, v7
	v_mul_f32_e32 v7, 0x3fa73d75, v8
	v_fmac_f32_e32 v12, 0x3f0a8bd4, v8
	v_mul_f32_e32 v8, 0x3eb504f3, v9
	v_mul_f32_e32 v9, 0x3eb504f3, v10
	;; [unrolled: 1-line block ×4, first 2 shown]
	v_fmac_f32_e32 v10, 0x3f49234e, v3
	v_fmac_f32_e32 v2, 0x3e8d42af, v3
	;; [unrolled: 1-line block ×6, first 2 shown]
	v_mul_f32_e32 v11, 0x3eb504f3, v11
	v_mul_f32_e32 v6, 0x3eb504f3, v6
	v_fma_f32 v0, v0, s2, -v7
	v_mul_f32_e32 v7, 0x3eb504f3, v12
	v_mul_f32_e32 v10, 0x3eb504f3, v10
	;; [unrolled: 1-line block ×3, first 2 shown]
	ds_write_b32 v1, v11
	ds_write_b32 v1, v6 offset:128
	v_mul_f32_e32 v0, 0x3eb504f3, v0
	ds_write_b32 v1, v7 offset:64
	ds_write_b32 v1, v0 offset:192
	;; [unrolled: 1-line block ×6, first 2 shown]
	global_store_dword v1, v11, s[0:1]
	global_store_dword v1, v8, s[0:1] offset:32
	global_store_dword v1, v7, s[0:1] offset:64
	;; [unrolled: 1-line block ×7, first 2 shown]
.LBB0_2:
	s_endpgm
	.section	.rodata,"a",@progbits
	.p2align	6, 0x0
	.amdhsa_kernel _Z8DCT2D8x8PfPKfj
		.amdhsa_group_segment_fixed_size 4128
		.amdhsa_private_segment_fixed_size 0
		.amdhsa_kernarg_size 20
		.amdhsa_user_sgpr_count 6
		.amdhsa_user_sgpr_private_segment_buffer 1
		.amdhsa_user_sgpr_dispatch_ptr 0
		.amdhsa_user_sgpr_queue_ptr 0
		.amdhsa_user_sgpr_kernarg_segment_ptr 1
		.amdhsa_user_sgpr_dispatch_id 0
		.amdhsa_user_sgpr_flat_scratch_init 0
		.amdhsa_user_sgpr_private_segment_size 0
		.amdhsa_uses_dynamic_stack 0
		.amdhsa_system_sgpr_private_segment_wavefront_offset 0
		.amdhsa_system_sgpr_workgroup_id_x 1
		.amdhsa_system_sgpr_workgroup_id_y 0
		.amdhsa_system_sgpr_workgroup_id_z 0
		.amdhsa_system_sgpr_workgroup_info 0
		.amdhsa_system_vgpr_workitem_id 1
		.amdhsa_next_free_vgpr 29
		.amdhsa_next_free_sgpr 61
		.amdhsa_reserve_vcc 1
		.amdhsa_reserve_flat_scratch 0
		.amdhsa_float_round_mode_32 0
		.amdhsa_float_round_mode_16_64 0
		.amdhsa_float_denorm_mode_32 3
		.amdhsa_float_denorm_mode_16_64 3
		.amdhsa_dx10_clamp 1
		.amdhsa_ieee_mode 1
		.amdhsa_fp16_overflow 0
		.amdhsa_exception_fp_ieee_invalid_op 0
		.amdhsa_exception_fp_denorm_src 0
		.amdhsa_exception_fp_ieee_div_zero 0
		.amdhsa_exception_fp_ieee_overflow 0
		.amdhsa_exception_fp_ieee_underflow 0
		.amdhsa_exception_fp_ieee_inexact 0
		.amdhsa_exception_int_div_zero 0
	.end_amdhsa_kernel
	.text
.Lfunc_end0:
	.size	_Z8DCT2D8x8PfPKfj, .Lfunc_end0-_Z8DCT2D8x8PfPKfj
                                        ; -- End function
	.set _Z8DCT2D8x8PfPKfj.num_vgpr, 15
	.set _Z8DCT2D8x8PfPKfj.num_agpr, 0
	.set _Z8DCT2D8x8PfPKfj.numbered_sgpr, 8
	.set _Z8DCT2D8x8PfPKfj.num_named_barrier, 0
	.set _Z8DCT2D8x8PfPKfj.private_seg_size, 0
	.set _Z8DCT2D8x8PfPKfj.uses_vcc, 1
	.set _Z8DCT2D8x8PfPKfj.uses_flat_scratch, 0
	.set _Z8DCT2D8x8PfPKfj.has_dyn_sized_stack, 0
	.set _Z8DCT2D8x8PfPKfj.has_recursion, 0
	.set _Z8DCT2D8x8PfPKfj.has_indirect_call, 0
	.section	.AMDGPU.csdata,"",@progbits
; Kernel info:
; codeLenInByte = 1032
; TotalNumSgprs: 12
; NumVgprs: 15
; ScratchSize: 0
; MemoryBound: 0
; FloatMode: 240
; IeeeMode: 1
; LDSByteSize: 4128 bytes/workgroup (compile time only)
; SGPRBlocks: 8
; VGPRBlocks: 7
; NumSGPRsForWavesPerEU: 65
; NumVGPRsForWavesPerEU: 29
; Occupancy: 8
; WaveLimiterHint : 0
; COMPUTE_PGM_RSRC2:SCRATCH_EN: 0
; COMPUTE_PGM_RSRC2:USER_SGPR: 6
; COMPUTE_PGM_RSRC2:TRAP_HANDLER: 0
; COMPUTE_PGM_RSRC2:TGID_X_EN: 1
; COMPUTE_PGM_RSRC2:TGID_Y_EN: 0
; COMPUTE_PGM_RSRC2:TGID_Z_EN: 0
; COMPUTE_PGM_RSRC2:TIDIG_COMP_CNT: 1
	.text
	.protected	_Z9IDCT2D8x8PfPKfj      ; -- Begin function _Z9IDCT2D8x8PfPKfj
	.globl	_Z9IDCT2D8x8PfPKfj
	.p2align	8
	.type	_Z9IDCT2D8x8PfPKfj,@function
_Z9IDCT2D8x8PfPKfj:                     ; @_Z9IDCT2D8x8PfPKfj
; %bb.0:
	s_load_dword s0, s[4:5], 0x10
	s_lshl_b32 s6, s6, 10
	v_lshlrev_b32_e32 v2, 6, v1
	v_add_u32_e32 v1, s6, v2
	v_or_b32_e32 v1, 63, v1
	s_waitcnt lgkmcnt(0)
	v_cmp_gt_u32_e32 vcc, s0, v1
	s_and_saveexec_b64 s[0:1], vcc
	s_cbranch_execz .LBB1_2
; %bb.1:
	s_load_dwordx4 s[0:3], s[4:5], 0x0
	s_mov_b32 s7, 0
	s_lshl_b64 s[4:5], s[6:7], 2
	v_add_lshl_u32 v1, v2, v0, 2
	v_lshlrev_b32_e32 v0, 5, v0
	s_waitcnt lgkmcnt(0)
	s_add_u32 s2, s2, s4
	s_addc_u32 s3, s3, s5
	global_load_dword v3, v1, s[2:3]
	global_load_dword v4, v1, s[2:3] offset:32
	global_load_dword v5, v1, s[2:3] offset:64
	;; [unrolled: 1-line block ×7, first 2 shown]
	v_lshl_add_u32 v0, v2, 2, v0
	s_mov_b32 s3, 0x3f968317
	s_mov_b32 s2, 0x3f0a8bd4
	s_add_u32 s0, s0, s4
	s_addc_u32 s1, s1, s5
	s_waitcnt vmcnt(7)
	ds_write_b32 v1, v3
	s_waitcnt vmcnt(6)
	ds_write_b32 v1, v4 offset:32
	s_waitcnt vmcnt(5)
	ds_write_b32 v1, v5 offset:64
	;; [unrolled: 2-line block ×7, first 2 shown]
	ds_read_b128 v[2:5], v0
	ds_read_b128 v[6:9], v0 offset:16
	s_waitcnt lgkmcnt(1)
	v_mul_f32_e32 v12, 0x3fb18a86, v3
	s_waitcnt lgkmcnt(0)
	v_add_f32_e32 v10, v2, v6
	v_mul_f32_e32 v11, 0x3f0a8bd4, v8
	v_mul_f32_e32 v13, 0xbe8d42af, v3
	v_sub_f32_e32 v2, v2, v6
	v_mul_f32_e32 v6, 0x3fa73d75, v8
	v_mul_f32_e32 v8, 0x3f49234e, v9
	;; [unrolled: 1-line block ×3, first 2 shown]
	v_fmac_f32_e32 v12, 0x3e8d42af, v9
	v_fmac_f32_e32 v13, 0x3fb18a86, v9
	v_fma_f32 v3, v3, s3, -v8
	v_fmac_f32_e32 v14, 0x3f968317, v9
	v_fmac_f32_e32 v11, 0x3fa73d75, v4
	v_fma_f32 v4, v4, s2, -v6
	v_fmac_f32_e32 v12, 0x3f968317, v5
	v_fmac_f32_e32 v13, 0x3f49234e, v5
	;; [unrolled: 1-line block ×4, first 2 shown]
	v_add_f32_e32 v6, v10, v11
	v_sub_f32_e32 v8, v10, v11
	v_add_f32_e32 v9, v2, v4
	v_sub_f32_e32 v2, v2, v4
	v_fmac_f32_e32 v12, 0x3f49234e, v7
	v_fmac_f32_e32 v13, 0xbf968317, v7
	;; [unrolled: 1-line block ×4, first 2 shown]
	v_add_f32_e32 v4, v6, v12
	v_sub_f32_e32 v5, v6, v12
	v_add_f32_e32 v6, v8, v13
	v_sub_f32_e32 v7, v8, v13
	v_add_f32_e32 v8, v9, v3
	v_add_f32_e32 v11, v2, v14
	v_sub_f32_e32 v10, v2, v14
	v_sub_f32_e32 v12, v9, v3
	v_mul_f32_e32 v2, 0x3eb504f3, v4
	v_mul_f32_e32 v9, 0x3eb504f3, v5
	;; [unrolled: 1-line block ×8, first 2 shown]
	ds_write_b128 v0, v[2:5]
	ds_write_b128 v0, v[6:9] offset:16
	ds_read2_b32 v[2:3], v1 offset0:32 offset1:40
	ds_read2_b32 v[4:5], v1 offset1:8
	ds_read2_b32 v[6:7], v1 offset0:48 offset1:56
	ds_read2_b32 v[8:9], v1 offset0:16 offset1:24
	s_waitcnt lgkmcnt(2)
	v_add_f32_e32 v0, v4, v2
	s_waitcnt lgkmcnt(1)
	v_mul_f32_e32 v10, 0x3f0a8bd4, v6
	v_mul_f32_e32 v11, 0x3fb18a86, v5
	;; [unrolled: 1-line block ×3, first 2 shown]
	v_sub_f32_e32 v2, v4, v2
	v_mul_f32_e32 v4, 0x3fa73d75, v6
	v_mul_f32_e32 v6, 0x3f49234e, v7
	v_mul_f32_e32 v13, 0x3f49234e, v5
	v_fmac_f32_e32 v11, 0x3e8d42af, v7
	v_fmac_f32_e32 v12, 0x3fb18a86, v7
	v_fma_f32 v5, v5, s3, -v6
	v_fmac_f32_e32 v13, 0x3f968317, v7
	s_waitcnt lgkmcnt(0)
	v_fmac_f32_e32 v10, 0x3fa73d75, v8
	v_fma_f32 v4, v8, s2, -v4
	v_fmac_f32_e32 v11, 0x3f968317, v9
	v_fmac_f32_e32 v12, 0x3f49234e, v9
	;; [unrolled: 1-line block ×4, first 2 shown]
	v_add_f32_e32 v6, v0, v10
	v_sub_f32_e32 v0, v0, v10
	v_add_f32_e32 v7, v2, v4
	v_sub_f32_e32 v2, v2, v4
	v_fmac_f32_e32 v11, 0x3f49234e, v3
	v_fmac_f32_e32 v12, 0xbf968317, v3
	;; [unrolled: 1-line block ×4, first 2 shown]
	v_add_f32_e32 v3, v6, v11
	v_sub_f32_e32 v4, v6, v11
	v_add_f32_e32 v6, v0, v12
	v_sub_f32_e32 v0, v0, v12
	;; [unrolled: 2-line block ×4, first 2 shown]
	v_mul_f32_e32 v3, 0x3eb504f3, v3
	v_mul_f32_e32 v0, 0x3eb504f3, v0
	;; [unrolled: 1-line block ×8, first 2 shown]
	ds_write_b32 v1, v3
	ds_write_b32 v1, v4 offset:224
	ds_write_b32 v1, v6 offset:128
	;; [unrolled: 1-line block ×7, first 2 shown]
	global_store_dword v1, v3, s[0:1]
	global_store_dword v1, v8, s[0:1] offset:32
	global_store_dword v1, v2, s[0:1] offset:64
	;; [unrolled: 1-line block ×7, first 2 shown]
.LBB1_2:
	s_endpgm
	.section	.rodata,"a",@progbits
	.p2align	6, 0x0
	.amdhsa_kernel _Z9IDCT2D8x8PfPKfj
		.amdhsa_group_segment_fixed_size 4128
		.amdhsa_private_segment_fixed_size 0
		.amdhsa_kernarg_size 20
		.amdhsa_user_sgpr_count 6
		.amdhsa_user_sgpr_private_segment_buffer 1
		.amdhsa_user_sgpr_dispatch_ptr 0
		.amdhsa_user_sgpr_queue_ptr 0
		.amdhsa_user_sgpr_kernarg_segment_ptr 1
		.amdhsa_user_sgpr_dispatch_id 0
		.amdhsa_user_sgpr_flat_scratch_init 0
		.amdhsa_user_sgpr_private_segment_size 0
		.amdhsa_uses_dynamic_stack 0
		.amdhsa_system_sgpr_private_segment_wavefront_offset 0
		.amdhsa_system_sgpr_workgroup_id_x 1
		.amdhsa_system_sgpr_workgroup_id_y 0
		.amdhsa_system_sgpr_workgroup_id_z 0
		.amdhsa_system_sgpr_workgroup_info 0
		.amdhsa_system_vgpr_workitem_id 1
		.amdhsa_next_free_vgpr 29
		.amdhsa_next_free_sgpr 61
		.amdhsa_reserve_vcc 1
		.amdhsa_reserve_flat_scratch 0
		.amdhsa_float_round_mode_32 0
		.amdhsa_float_round_mode_16_64 0
		.amdhsa_float_denorm_mode_32 3
		.amdhsa_float_denorm_mode_16_64 3
		.amdhsa_dx10_clamp 1
		.amdhsa_ieee_mode 1
		.amdhsa_fp16_overflow 0
		.amdhsa_exception_fp_ieee_invalid_op 0
		.amdhsa_exception_fp_denorm_src 0
		.amdhsa_exception_fp_ieee_div_zero 0
		.amdhsa_exception_fp_ieee_overflow 0
		.amdhsa_exception_fp_ieee_underflow 0
		.amdhsa_exception_fp_ieee_inexact 0
		.amdhsa_exception_int_div_zero 0
	.end_amdhsa_kernel
	.text
.Lfunc_end1:
	.size	_Z9IDCT2D8x8PfPKfj, .Lfunc_end1-_Z9IDCT2D8x8PfPKfj
                                        ; -- End function
	.set _Z9IDCT2D8x8PfPKfj.num_vgpr, 15
	.set _Z9IDCT2D8x8PfPKfj.num_agpr, 0
	.set _Z9IDCT2D8x8PfPKfj.numbered_sgpr, 8
	.set _Z9IDCT2D8x8PfPKfj.num_named_barrier, 0
	.set _Z9IDCT2D8x8PfPKfj.private_seg_size, 0
	.set _Z9IDCT2D8x8PfPKfj.uses_vcc, 1
	.set _Z9IDCT2D8x8PfPKfj.uses_flat_scratch, 0
	.set _Z9IDCT2D8x8PfPKfj.has_dyn_sized_stack, 0
	.set _Z9IDCT2D8x8PfPKfj.has_recursion, 0
	.set _Z9IDCT2D8x8PfPKfj.has_indirect_call, 0
	.section	.AMDGPU.csdata,"",@progbits
; Kernel info:
; codeLenInByte = 1048
; TotalNumSgprs: 12
; NumVgprs: 15
; ScratchSize: 0
; MemoryBound: 0
; FloatMode: 240
; IeeeMode: 1
; LDSByteSize: 4128 bytes/workgroup (compile time only)
; SGPRBlocks: 8
; VGPRBlocks: 7
; NumSGPRsForWavesPerEU: 65
; NumVGPRsForWavesPerEU: 29
; Occupancy: 8
; WaveLimiterHint : 0
; COMPUTE_PGM_RSRC2:SCRATCH_EN: 0
; COMPUTE_PGM_RSRC2:USER_SGPR: 6
; COMPUTE_PGM_RSRC2:TRAP_HANDLER: 0
; COMPUTE_PGM_RSRC2:TGID_X_EN: 1
; COMPUTE_PGM_RSRC2:TGID_Y_EN: 0
; COMPUTE_PGM_RSRC2:TGID_Z_EN: 0
; COMPUTE_PGM_RSRC2:TIDIG_COMP_CNT: 1
	.section	.AMDGPU.gpr_maximums,"",@progbits
	.set amdgpu.max_num_vgpr, 0
	.set amdgpu.max_num_agpr, 0
	.set amdgpu.max_num_sgpr, 0
	.section	.AMDGPU.csdata,"",@progbits
	.type	__hip_cuid_a5774338bc4d4de6,@object ; @__hip_cuid_a5774338bc4d4de6
	.section	.bss,"aw",@nobits
	.globl	__hip_cuid_a5774338bc4d4de6
__hip_cuid_a5774338bc4d4de6:
	.byte	0                               ; 0x0
	.size	__hip_cuid_a5774338bc4d4de6, 1

	.ident	"AMD clang version 22.0.0git (https://github.com/RadeonOpenCompute/llvm-project roc-7.2.4 26084 f58b06dce1f9c15707c5f808fd002e18c2accf7e)"
	.section	".note.GNU-stack","",@progbits
	.addrsig
	.addrsig_sym __hip_cuid_a5774338bc4d4de6
	.amdgpu_metadata
---
amdhsa.kernels:
  - .args:
      - .actual_access:  write_only
        .address_space:  global
        .offset:         0
        .size:           8
        .value_kind:     global_buffer
      - .actual_access:  read_only
        .address_space:  global
        .offset:         8
        .size:           8
        .value_kind:     global_buffer
      - .offset:         16
        .size:           4
        .value_kind:     by_value
    .group_segment_fixed_size: 4128
    .kernarg_segment_align: 8
    .kernarg_segment_size: 20
    .language:       OpenCL C
    .language_version:
      - 2
      - 0
    .max_flat_workgroup_size: 1024
    .name:           _Z8DCT2D8x8PfPKfj
    .private_segment_fixed_size: 0
    .sgpr_count:     12
    .sgpr_spill_count: 0
    .symbol:         _Z8DCT2D8x8PfPKfj.kd
    .uniform_work_group_size: 1
    .uses_dynamic_stack: false
    .vgpr_count:     15
    .vgpr_spill_count: 0
    .wavefront_size: 64
  - .args:
      - .actual_access:  write_only
        .address_space:  global
        .offset:         0
        .size:           8
        .value_kind:     global_buffer
      - .actual_access:  read_only
        .address_space:  global
        .offset:         8
        .size:           8
        .value_kind:     global_buffer
      - .offset:         16
        .size:           4
        .value_kind:     by_value
    .group_segment_fixed_size: 4128
    .kernarg_segment_align: 8
    .kernarg_segment_size: 20
    .language:       OpenCL C
    .language_version:
      - 2
      - 0
    .max_flat_workgroup_size: 1024
    .name:           _Z9IDCT2D8x8PfPKfj
    .private_segment_fixed_size: 0
    .sgpr_count:     12
    .sgpr_spill_count: 0
    .symbol:         _Z9IDCT2D8x8PfPKfj.kd
    .uniform_work_group_size: 1
    .uses_dynamic_stack: false
    .vgpr_count:     15
    .vgpr_spill_count: 0
    .wavefront_size: 64
amdhsa.target:   amdgcn-amd-amdhsa--gfx906
amdhsa.version:
  - 1
  - 2
...

	.end_amdgpu_metadata
